;; amdgpu-corpus repo=ROCm/rocFFT kind=compiled arch=gfx1030 opt=O3
	.text
	.amdgcn_target "amdgcn-amd-amdhsa--gfx1030"
	.amdhsa_code_object_version 6
	.protected	fft_rtc_fwd_len294_factors_6_7_7_wgs_126_tpt_42_dp_op_CI_CI_unitstride_sbrr_R2C_dirReg ; -- Begin function fft_rtc_fwd_len294_factors_6_7_7_wgs_126_tpt_42_dp_op_CI_CI_unitstride_sbrr_R2C_dirReg
	.globl	fft_rtc_fwd_len294_factors_6_7_7_wgs_126_tpt_42_dp_op_CI_CI_unitstride_sbrr_R2C_dirReg
	.p2align	8
	.type	fft_rtc_fwd_len294_factors_6_7_7_wgs_126_tpt_42_dp_op_CI_CI_unitstride_sbrr_R2C_dirReg,@function
fft_rtc_fwd_len294_factors_6_7_7_wgs_126_tpt_42_dp_op_CI_CI_unitstride_sbrr_R2C_dirReg: ; @fft_rtc_fwd_len294_factors_6_7_7_wgs_126_tpt_42_dp_op_CI_CI_unitstride_sbrr_R2C_dirReg
; %bb.0:
	s_load_dwordx4 s[12:15], s[4:5], 0x0
	v_mul_u32_u24_e32 v1, 0x619, v0
	s_clause 0x1
	s_load_dwordx4 s[8:11], s[4:5], 0x58
	s_load_dwordx4 s[16:19], s[4:5], 0x18
	v_mov_b32_e32 v5, 0
	v_lshrrev_b32_e32 v3, 16, v1
	v_mov_b32_e32 v1, 0
	v_mov_b32_e32 v2, 0
	v_mad_u64_u32 v[3:4], null, s6, 3, v[3:4]
	v_mov_b32_e32 v4, v5
	v_mov_b32_e32 v25, v2
	;; [unrolled: 1-line block ×5, first 2 shown]
	s_waitcnt lgkmcnt(0)
	v_cmp_lt_u64_e64 s0, s[14:15], 2
	s_and_b32 vcc_lo, exec_lo, s0
	s_cbranch_vccnz .LBB0_8
; %bb.1:
	s_load_dwordx2 s[0:1], s[4:5], 0x10
	v_mov_b32_e32 v1, 0
	v_mov_b32_e32 v2, 0
	s_add_u32 s2, s18, 8
	v_mov_b32_e32 v8, v4
	s_addc_u32 s3, s19, 0
	v_mov_b32_e32 v7, v3
	v_mov_b32_e32 v25, v2
	s_add_u32 s6, s16, 8
	v_mov_b32_e32 v24, v1
	s_addc_u32 s7, s17, 0
	s_mov_b64 s[22:23], 1
	s_waitcnt lgkmcnt(0)
	s_add_u32 s20, s0, 8
	s_addc_u32 s21, s1, 0
.LBB0_2:                                ; =>This Inner Loop Header: Depth=1
	s_load_dwordx2 s[24:25], s[20:21], 0x0
                                        ; implicit-def: $vgpr26_vgpr27
	s_mov_b32 s0, exec_lo
	s_waitcnt lgkmcnt(0)
	v_or_b32_e32 v6, s25, v8
	v_cmpx_ne_u64_e32 0, v[5:6]
	s_xor_b32 s1, exec_lo, s0
	s_cbranch_execz .LBB0_4
; %bb.3:                                ;   in Loop: Header=BB0_2 Depth=1
	v_cvt_f32_u32_e32 v4, s24
	v_cvt_f32_u32_e32 v6, s25
	s_sub_u32 s0, 0, s24
	s_subb_u32 s26, 0, s25
	v_fmac_f32_e32 v4, 0x4f800000, v6
	v_rcp_f32_e32 v4, v4
	v_mul_f32_e32 v4, 0x5f7ffffc, v4
	v_mul_f32_e32 v6, 0x2f800000, v4
	v_trunc_f32_e32 v6, v6
	v_fmac_f32_e32 v4, 0xcf800000, v6
	v_cvt_u32_f32_e32 v6, v6
	v_cvt_u32_f32_e32 v4, v4
	v_mul_lo_u32 v9, s0, v6
	v_mul_hi_u32 v10, s0, v4
	v_mul_lo_u32 v11, s26, v4
	v_add_nc_u32_e32 v9, v10, v9
	v_mul_lo_u32 v10, s0, v4
	v_add_nc_u32_e32 v9, v9, v11
	v_mul_hi_u32 v11, v4, v10
	v_mul_lo_u32 v12, v4, v9
	v_mul_hi_u32 v13, v4, v9
	v_mul_hi_u32 v14, v6, v10
	v_mul_lo_u32 v10, v6, v10
	v_mul_hi_u32 v15, v6, v9
	v_mul_lo_u32 v9, v6, v9
	v_add_co_u32 v11, vcc_lo, v11, v12
	v_add_co_ci_u32_e32 v12, vcc_lo, 0, v13, vcc_lo
	v_add_co_u32 v10, vcc_lo, v11, v10
	v_add_co_ci_u32_e32 v10, vcc_lo, v12, v14, vcc_lo
	v_add_co_ci_u32_e32 v11, vcc_lo, 0, v15, vcc_lo
	v_add_co_u32 v9, vcc_lo, v10, v9
	v_add_co_ci_u32_e32 v10, vcc_lo, 0, v11, vcc_lo
	v_add_co_u32 v4, vcc_lo, v4, v9
	v_add_co_ci_u32_e32 v6, vcc_lo, v6, v10, vcc_lo
	v_mul_hi_u32 v9, s0, v4
	v_mul_lo_u32 v11, s26, v4
	v_mul_lo_u32 v10, s0, v6
	v_add_nc_u32_e32 v9, v9, v10
	v_mul_lo_u32 v10, s0, v4
	v_add_nc_u32_e32 v9, v9, v11
	v_mul_hi_u32 v11, v4, v10
	v_mul_lo_u32 v12, v4, v9
	v_mul_hi_u32 v13, v4, v9
	v_mul_hi_u32 v14, v6, v10
	v_mul_lo_u32 v10, v6, v10
	v_mul_hi_u32 v15, v6, v9
	v_mul_lo_u32 v9, v6, v9
	v_add_co_u32 v11, vcc_lo, v11, v12
	v_add_co_ci_u32_e32 v12, vcc_lo, 0, v13, vcc_lo
	v_add_co_u32 v10, vcc_lo, v11, v10
	v_add_co_ci_u32_e32 v10, vcc_lo, v12, v14, vcc_lo
	v_add_co_ci_u32_e32 v11, vcc_lo, 0, v15, vcc_lo
	v_add_co_u32 v9, vcc_lo, v10, v9
	v_add_co_ci_u32_e32 v10, vcc_lo, 0, v11, vcc_lo
	v_add_co_u32 v4, vcc_lo, v4, v9
	v_add_co_ci_u32_e32 v6, vcc_lo, v6, v10, vcc_lo
	v_mul_hi_u32 v15, v7, v4
	v_mad_u64_u32 v[11:12], null, v8, v4, 0
	v_mad_u64_u32 v[9:10], null, v7, v6, 0
	;; [unrolled: 1-line block ×3, first 2 shown]
	v_add_co_u32 v4, vcc_lo, v15, v9
	v_add_co_ci_u32_e32 v6, vcc_lo, 0, v10, vcc_lo
	v_add_co_u32 v4, vcc_lo, v4, v11
	v_add_co_ci_u32_e32 v4, vcc_lo, v6, v12, vcc_lo
	v_add_co_ci_u32_e32 v6, vcc_lo, 0, v14, vcc_lo
	v_add_co_u32 v4, vcc_lo, v4, v13
	v_add_co_ci_u32_e32 v6, vcc_lo, 0, v6, vcc_lo
	v_mul_lo_u32 v11, s25, v4
	v_mad_u64_u32 v[9:10], null, s24, v4, 0
	v_mul_lo_u32 v12, s24, v6
	v_sub_co_u32 v9, vcc_lo, v7, v9
	v_add3_u32 v10, v10, v12, v11
	v_sub_nc_u32_e32 v11, v8, v10
	v_subrev_co_ci_u32_e64 v11, s0, s25, v11, vcc_lo
	v_add_co_u32 v12, s0, v4, 2
	v_add_co_ci_u32_e64 v13, s0, 0, v6, s0
	v_sub_co_u32 v14, s0, v9, s24
	v_sub_co_ci_u32_e32 v10, vcc_lo, v8, v10, vcc_lo
	v_subrev_co_ci_u32_e64 v11, s0, 0, v11, s0
	v_cmp_le_u32_e32 vcc_lo, s24, v14
	v_cmp_eq_u32_e64 s0, s25, v10
	v_cndmask_b32_e64 v14, 0, -1, vcc_lo
	v_cmp_le_u32_e32 vcc_lo, s25, v11
	v_cndmask_b32_e64 v15, 0, -1, vcc_lo
	v_cmp_le_u32_e32 vcc_lo, s24, v9
	;; [unrolled: 2-line block ×3, first 2 shown]
	v_cndmask_b32_e64 v16, 0, -1, vcc_lo
	v_cmp_eq_u32_e32 vcc_lo, s25, v11
	v_cndmask_b32_e64 v9, v16, v9, s0
	v_cndmask_b32_e32 v11, v15, v14, vcc_lo
	v_add_co_u32 v14, vcc_lo, v4, 1
	v_add_co_ci_u32_e32 v15, vcc_lo, 0, v6, vcc_lo
	v_cmp_ne_u32_e32 vcc_lo, 0, v11
	v_cndmask_b32_e32 v10, v15, v13, vcc_lo
	v_cndmask_b32_e32 v11, v14, v12, vcc_lo
	v_cmp_ne_u32_e32 vcc_lo, 0, v9
	v_cndmask_b32_e32 v27, v6, v10, vcc_lo
	v_cndmask_b32_e32 v26, v4, v11, vcc_lo
.LBB0_4:                                ;   in Loop: Header=BB0_2 Depth=1
	s_andn2_saveexec_b32 s0, s1
	s_cbranch_execz .LBB0_6
; %bb.5:                                ;   in Loop: Header=BB0_2 Depth=1
	v_cvt_f32_u32_e32 v4, s24
	s_sub_i32 s1, 0, s24
	v_mov_b32_e32 v27, v5
	v_rcp_iflag_f32_e32 v4, v4
	v_mul_f32_e32 v4, 0x4f7ffffe, v4
	v_cvt_u32_f32_e32 v4, v4
	v_mul_lo_u32 v6, s1, v4
	v_mul_hi_u32 v6, v4, v6
	v_add_nc_u32_e32 v4, v4, v6
	v_mul_hi_u32 v4, v7, v4
	v_mul_lo_u32 v6, v4, s24
	v_add_nc_u32_e32 v9, 1, v4
	v_sub_nc_u32_e32 v6, v7, v6
	v_subrev_nc_u32_e32 v10, s24, v6
	v_cmp_le_u32_e32 vcc_lo, s24, v6
	v_cndmask_b32_e32 v6, v6, v10, vcc_lo
	v_cndmask_b32_e32 v4, v4, v9, vcc_lo
	v_cmp_le_u32_e32 vcc_lo, s24, v6
	v_add_nc_u32_e32 v9, 1, v4
	v_cndmask_b32_e32 v26, v4, v9, vcc_lo
.LBB0_6:                                ;   in Loop: Header=BB0_2 Depth=1
	s_or_b32 exec_lo, exec_lo, s0
	v_mul_lo_u32 v4, v27, s24
	v_mul_lo_u32 v6, v26, s25
	s_load_dwordx2 s[0:1], s[6:7], 0x0
	v_mad_u64_u32 v[9:10], null, v26, s24, 0
	s_load_dwordx2 s[24:25], s[2:3], 0x0
	s_add_u32 s22, s22, 1
	s_addc_u32 s23, s23, 0
	s_add_u32 s2, s2, 8
	s_addc_u32 s3, s3, 0
	s_add_u32 s6, s6, 8
	v_add3_u32 v4, v10, v6, v4
	v_sub_co_u32 v6, vcc_lo, v7, v9
	s_addc_u32 s7, s7, 0
	s_add_u32 s20, s20, 8
	v_sub_co_ci_u32_e32 v4, vcc_lo, v8, v4, vcc_lo
	s_addc_u32 s21, s21, 0
	s_waitcnt lgkmcnt(0)
	v_mul_lo_u32 v7, s0, v4
	v_mul_lo_u32 v8, s1, v6
	v_mad_u64_u32 v[1:2], null, s0, v6, v[1:2]
	v_mul_lo_u32 v4, s24, v4
	v_mul_lo_u32 v9, s25, v6
	v_mad_u64_u32 v[24:25], null, s24, v6, v[24:25]
	v_cmp_ge_u64_e64 s0, s[22:23], s[14:15]
	v_add3_u32 v2, v8, v2, v7
	v_add3_u32 v25, v9, v25, v4
	s_and_b32 vcc_lo, exec_lo, s0
	s_cbranch_vccnz .LBB0_8
; %bb.7:                                ;   in Loop: Header=BB0_2 Depth=1
	v_mov_b32_e32 v7, v26
	v_mov_b32_e32 v8, v27
	s_branch .LBB0_2
.LBB0_8:
	s_load_dwordx2 s[0:1], s[4:5], 0x28
	v_mul_hi_u32 v4, 0xaaaaaaab, v3
	s_lshl_b64 s[4:5], s[14:15], 3
                                        ; implicit-def: $vgpr28
                                        ; implicit-def: $vgpr30
	s_add_u32 s2, s18, s4
	s_addc_u32 s3, s19, s5
	v_lshrrev_b32_e32 v4, 1, v4
	v_lshl_add_u32 v5, v4, 1, v4
	v_mul_hi_u32 v4, 0x6186187, v0
	v_sub_nc_u32_e32 v3, v3, v5
	s_waitcnt lgkmcnt(0)
	v_cmp_gt_u64_e32 vcc_lo, s[0:1], v[26:27]
	v_cmp_le_u64_e64 s0, s[0:1], v[26:27]
	s_and_saveexec_b32 s1, s0
	s_xor_b32 s0, exec_lo, s1
; %bb.9:
	v_mul_u32_u24_e32 v1, 42, v4
                                        ; implicit-def: $vgpr4
	v_sub_nc_u32_e32 v28, v0, v1
                                        ; implicit-def: $vgpr0
                                        ; implicit-def: $vgpr1_vgpr2
	v_add_nc_u32_e32 v30, 42, v28
; %bb.10:
	s_or_saveexec_b32 s1, s0
	v_mul_u32_u24_e32 v3, 0x127, v3
	v_lshlrev_b32_e32 v34, 4, v3
	s_xor_b32 exec_lo, exec_lo, s1
	s_cbranch_execz .LBB0_12
; %bb.11:
	s_add_u32 s4, s16, s4
	s_addc_u32 s5, s17, s5
	v_lshlrev_b64 v[1:2], 4, v[1:2]
	s_load_dwordx2 s[4:5], s[4:5], 0x0
	s_waitcnt lgkmcnt(0)
	v_mul_lo_u32 v3, s5, v26
	v_mul_lo_u32 v7, s4, v27
	v_mad_u64_u32 v[5:6], null, s4, v26, 0
	v_add3_u32 v6, v6, v7, v3
	v_mul_u32_u24_e32 v7, 42, v4
	v_lshlrev_b64 v[3:4], 4, v[5:6]
	v_sub_nc_u32_e32 v28, v0, v7
	v_lshlrev_b32_e32 v31, 4, v28
	v_add_co_u32 v0, s0, s8, v3
	v_add_co_ci_u32_e64 v3, s0, s9, v4, s0
	v_add_co_u32 v0, s0, v0, v1
	v_add_co_ci_u32_e64 v1, s0, v3, v2, s0
	;; [unrolled: 2-line block ×4, first 2 shown]
	s_clause 0x6
	global_load_dwordx4 v[0:3], v[12:13], off
	global_load_dwordx4 v[4:7], v[12:13], off offset:672
	global_load_dwordx4 v[8:11], v[12:13], off offset:1344
	;; [unrolled: 1-line block ×6, first 2 shown]
	v_add3_u32 v29, 0, v34, v31
	v_add_nc_u32_e32 v30, 42, v28
	s_waitcnt vmcnt(6)
	ds_write_b128 v29, v[0:3]
	s_waitcnt vmcnt(5)
	ds_write_b128 v29, v[4:7] offset:672
	s_waitcnt vmcnt(4)
	ds_write_b128 v29, v[8:11] offset:1344
	;; [unrolled: 2-line block ×6, first 2 shown]
.LBB0_12:
	s_or_b32 exec_lo, exec_lo, s1
	v_lshlrev_b32_e32 v29, 4, v28
	v_add_nc_u32_e32 v32, 0, v34
	s_load_dwordx2 s[2:3], s[2:3], 0x0
	s_waitcnt lgkmcnt(0)
	s_barrier
	v_add3_u32 v31, 0, v29, v34
	v_add_nc_u32_e32 v33, v32, v29
	buffer_gl0_inv
	s_mov_b32 s4, 0xe8584caa
	s_mov_b32 s5, 0x3febb67a
	ds_read_b128 v[20:23], v31 offset:3136
	ds_read_b128 v[35:38], v31 offset:1568
	ds_read_b128 v[39:42], v31 offset:3920
	ds_read_b128 v[43:46], v31 offset:2352
	ds_read_b128 v[47:50], v33
	ds_read_b128 v[0:3], v31 offset:2240
	ds_read_b128 v[4:7], v31 offset:3808
	;; [unrolled: 1-line block ×5, first 2 shown]
	s_mov_b32 s7, 0xbfebb67a
	s_mov_b32 s6, s4
	s_mov_b32 s1, exec_lo
	s_waitcnt lgkmcnt(6)
	v_add_f64 v[55:56], v[45:46], v[41:42]
	v_add_f64 v[65:66], v[43:44], v[39:40]
	;; [unrolled: 1-line block ×4, first 2 shown]
	s_waitcnt lgkmcnt(5)
	v_add_f64 v[57:58], v[47:48], v[35:36]
	v_add_f64 v[59:60], v[49:50], v[37:38]
	v_add_f64 v[61:62], v[37:38], -v[22:23]
	v_add_f64 v[63:64], v[35:36], -v[20:21]
	ds_read_b128 v[35:38], v31 offset:784
	v_fma_f64 v[47:48], v[51:52], -0.5, v[47:48]
	v_fma_f64 v[49:50], v[53:54], -0.5, v[49:50]
	v_add_f64 v[51:52], v[57:58], v[20:21]
	v_add_f64 v[53:54], v[59:60], v[22:23]
	ds_read_b128 v[20:23], v31 offset:1456
	s_waitcnt lgkmcnt(1)
	v_fma_f64 v[55:56], v[55:56], -0.5, v[37:38]
	v_fma_f64 v[57:58], v[65:66], -0.5, v[35:36]
	v_add_f64 v[35:36], v[35:36], v[43:44]
	v_add_f64 v[37:38], v[37:38], v[45:46]
	v_add_f64 v[43:44], v[43:44], -v[39:40]
	v_add_f64 v[45:46], v[45:46], -v[41:42]
	s_waitcnt lgkmcnt(0)
	s_barrier
	buffer_gl0_inv
	v_fma_f64 v[59:60], v[61:62], s[6:7], v[47:48]
	v_add_f64 v[39:40], v[35:36], v[39:40]
	v_add_f64 v[41:42], v[37:38], v[41:42]
	v_fma_f64 v[35:36], v[43:44], s[6:7], v[55:56]
	v_fma_f64 v[37:38], v[45:46], s[4:5], v[57:58]
	v_fma_f64 v[45:46], v[45:46], s[6:7], v[57:58]
	v_fma_f64 v[43:44], v[43:44], s[4:5], v[55:56]
	v_fma_f64 v[55:56], v[61:62], s[4:5], v[47:48]
	v_fma_f64 v[57:58], v[63:64], s[6:7], v[49:50]
	v_fma_f64 v[61:62], v[63:64], s[4:5], v[49:50]
	v_mul_f64 v[47:48], v[35:36], s[4:5]
	v_mul_f64 v[49:50], v[37:38], s[6:7]
	v_fma_f64 v[47:48], v[37:38], 0.5, v[47:48]
	v_mul_f64 v[37:38], v[45:46], -0.5
	v_fma_f64 v[49:50], v[35:36], 0.5, v[49:50]
	v_mul_f64 v[35:36], v[43:44], -0.5
	v_fma_f64 v[63:64], v[43:44], s[4:5], v[37:38]
	v_add_f64 v[37:38], v[53:54], v[41:42]
	v_fma_f64 v[65:66], v[45:46], s[6:7], v[35:36]
	v_add_f64 v[35:36], v[51:52], v[39:40]
	v_add_f64 v[39:40], v[51:52], -v[39:40]
	v_add_f64 v[41:42], v[53:54], -v[41:42]
	v_add_f64 v[43:44], v[55:56], v[47:48]
	v_add_f64 v[45:46], v[57:58], v[49:50]
	v_add_f64 v[47:48], v[55:56], -v[47:48]
	v_add_f64 v[49:50], v[57:58], -v[49:50]
	v_add_f64 v[51:52], v[59:60], v[63:64]
	v_add_f64 v[55:56], v[59:60], -v[63:64]
	v_add_f64 v[53:54], v[61:62], v[65:66]
	v_add_f64 v[57:58], v[61:62], -v[65:66]
	v_mad_u32_u24 v59, 0x50, v28, v31
	ds_write_b128 v59, v[35:38]
	ds_write_b128 v59, v[39:42] offset:48
	ds_write_b128 v59, v[43:46] offset:16
	;; [unrolled: 1-line block ×5, first 2 shown]
	v_cmpx_gt_u32_e32 7, v28
	s_cbranch_execz .LBB0_14
; %bb.13:
	v_add_f64 v[35:36], v[18:19], v[10:11]
	v_add_f64 v[37:38], v[16:17], v[8:9]
	v_add_f64 v[39:40], v[18:19], -v[10:11]
	v_add_f64 v[41:42], v[16:17], -v[8:9]
	v_add_f64 v[43:44], v[2:3], v[6:7]
	v_add_f64 v[49:50], v[0:1], v[4:5]
	;; [unrolled: 1-line block ×4, first 2 shown]
	v_fma_f64 v[35:36], v[35:36], -0.5, v[22:23]
	v_fma_f64 v[37:38], v[37:38], -0.5, v[20:21]
	v_add_f64 v[10:11], v[18:19], v[10:11]
	v_add_f64 v[8:9], v[16:17], v[8:9]
	v_fma_f64 v[45:46], v[41:42], s[4:5], v[35:36]
	v_fma_f64 v[47:48], v[39:40], s[4:5], v[37:38]
	;; [unrolled: 1-line block ×4, first 2 shown]
	v_add_f64 v[39:40], v[0:1], -v[4:5]
	v_add_f64 v[41:42], v[14:15], v[2:3]
	v_add_f64 v[0:1], v[12:13], v[0:1]
	v_fma_f64 v[14:15], v[43:44], -0.5, v[14:15]
	v_add_f64 v[2:3], v[2:3], -v[6:7]
	v_fma_f64 v[12:13], v[49:50], -0.5, v[12:13]
	v_mul_f64 v[20:21], v[45:46], -0.5
	v_mul_f64 v[22:23], v[47:48], s[6:7]
	v_mul_f64 v[43:44], v[35:36], s[4:5]
	v_mul_f64 v[49:50], v[37:38], -0.5
	v_add_f64 v[6:7], v[41:42], v[6:7]
	v_add_f64 v[4:5], v[0:1], v[4:5]
	v_fma_f64 v[16:17], v[39:40], s[4:5], v[14:15]
	v_fma_f64 v[39:40], v[39:40], s[6:7], v[14:15]
	;; [unrolled: 1-line block ×3, first 2 shown]
	v_fma_f64 v[20:21], v[35:36], 0.5, v[22:23]
	v_fma_f64 v[35:36], v[2:3], s[6:7], v[12:13]
	v_fma_f64 v[12:13], v[2:3], s[4:5], v[12:13]
	v_fma_f64 v[37:38], v[47:48], 0.5, v[43:44]
	v_fma_f64 v[41:42], v[45:46], s[4:5], v[49:50]
	v_add_f64 v[2:3], v[6:7], -v[10:11]
	v_add_f64 v[0:1], v[4:5], -v[8:9]
	v_add_f64 v[6:7], v[6:7], v[10:11]
	v_add_f64 v[4:5], v[4:5], v[8:9]
	v_add_f64 v[10:11], v[16:17], -v[18:19]
	v_add_f64 v[14:15], v[39:40], -v[20:21]
	v_add_f64 v[22:23], v[39:40], v[20:21]
	v_add_f64 v[18:19], v[16:17], v[18:19]
	v_add_f64 v[20:21], v[12:13], v[37:38]
	v_add_f64 v[16:17], v[35:36], v[41:42]
	v_add_f64 v[12:13], v[12:13], -v[37:38]
	v_add_f64 v[8:9], v[35:36], -v[41:42]
	v_mul_i32_i24_e32 v35, 6, v30
	v_lshlrev_b32_e32 v35, 4, v35
	v_add3_u32 v35, 0, v35, v34
	ds_write_b128 v35, v[4:7]
	ds_write_b128 v35, v[0:3] offset:48
	ds_write_b128 v35, v[20:23] offset:16
	;; [unrolled: 1-line block ×5, first 2 shown]
.LBB0_14:
	s_or_b32 exec_lo, exec_lo, s1
	v_and_b32_e32 v0, 0xff, v28
	v_mov_b32_e32 v1, 6
	s_waitcnt lgkmcnt(0)
	s_barrier
	buffer_gl0_inv
	v_mul_lo_u16 v0, 0xab, v0
	s_mov_b32 s4, 0xe976ee23
	s_mov_b32 s0, 0x429ad128
	;; [unrolled: 1-line block ×4, first 2 shown]
	v_lshrrev_b16 v23, 10, v0
	s_mov_b32 s1, 0x3febfeb5
	s_mov_b32 s23, 0x3fe948f6
	;; [unrolled: 1-line block ×4, first 2 shown]
	v_mul_lo_u16 v0, v23, 6
	s_mov_b32 s14, 0xb247c609
	s_mov_b32 s18, 0xaaaaaaaa
	;; [unrolled: 1-line block ×4, first 2 shown]
	v_sub_nc_u16 v71, v28, v0
	s_mov_b32 s19, 0xbff2aaaa
	s_mov_b32 s16, 0x5476071b
	;; [unrolled: 1-line block ×4, first 2 shown]
	v_mul_u32_u24_sdwa v0, v71, v1 dst_sel:DWORD dst_unused:UNUSED_PAD src0_sel:BYTE_0 src1_sel:DWORD
	s_mov_b32 s21, 0xbfe77f67
	s_mov_b32 s20, s16
	;; [unrolled: 1-line block ×4, first 2 shown]
	v_lshlrev_b32_e32 v0, 4, v0
	v_and_b32_e32 v23, 0xffff, v23
	s_clause 0x5
	global_load_dwordx4 v[1:4], v0, s[12:13]
	global_load_dwordx4 v[5:8], v0, s[12:13] offset:16
	global_load_dwordx4 v[9:12], v0, s[12:13] offset:80
	;; [unrolled: 1-line block ×5, first 2 shown]
	v_lshlrev_b32_e32 v0, 4, v30
	v_add3_u32 v0, 0, v0, v34
	ds_read_b128 v[39:42], v0
	ds_read_b128 v[43:46], v31 offset:1344
	ds_read_b128 v[47:50], v31 offset:4032
	;; [unrolled: 1-line block ×3, first 2 shown]
	ds_read_b128 v[55:58], v33
	ds_read_b128 v[59:62], v31 offset:2016
	ds_read_b128 v[63:66], v31 offset:2688
	s_waitcnt vmcnt(0) lgkmcnt(0)
	s_barrier
	buffer_gl0_inv
	v_mul_f64 v[21:22], v[41:42], v[3:4]
	v_mul_f64 v[3:4], v[39:40], v[3:4]
	;; [unrolled: 1-line block ×6, first 2 shown]
	v_fma_f64 v[21:22], v[39:40], v[1:2], -v[21:22]
	v_fma_f64 v[1:2], v[41:42], v[1:2], v[3:4]
	v_mul_f64 v[3:4], v[53:54], v[15:16]
	v_mul_f64 v[15:16], v[51:52], v[15:16]
	;; [unrolled: 1-line block ×4, first 2 shown]
	v_fma_f64 v[41:42], v[43:44], v[5:6], -v[67:68]
	v_fma_f64 v[5:6], v[45:46], v[5:6], v[7:8]
	v_mul_f64 v[7:8], v[65:66], v[37:38]
	v_mul_f64 v[37:38], v[63:64], v[37:38]
	v_fma_f64 v[43:44], v[47:48], v[9:10], -v[69:70]
	v_fma_f64 v[9:10], v[49:50], v[9:10], v[11:12]
	v_fma_f64 v[3:4], v[51:52], v[13:14], -v[3:4]
	v_fma_f64 v[11:12], v[53:54], v[13:14], v[15:16]
	;; [unrolled: 2-line block ×4, first 2 shown]
	v_add_f64 v[19:20], v[21:22], v[43:44]
	v_add_f64 v[35:36], v[1:2], v[9:10]
	v_add_f64 v[9:10], v[1:2], -v[9:10]
	v_add_f64 v[21:22], v[21:22], -v[43:44]
	v_add_f64 v[37:38], v[41:42], v[3:4]
	v_add_f64 v[39:40], v[5:6], v[11:12]
	v_add_f64 v[3:4], v[41:42], -v[3:4]
	v_add_f64 v[5:6], v[5:6], -v[11:12]
	;; [unrolled: 1-line block ×4, first 2 shown]
	v_add_f64 v[1:2], v[13:14], v[7:8]
	v_add_f64 v[7:8], v[15:16], v[17:18]
	;; [unrolled: 1-line block ×4, first 2 shown]
	v_add_f64 v[45:46], v[3:4], -v[21:22]
	v_add_f64 v[47:48], v[5:6], -v[9:10]
	;; [unrolled: 1-line block ×7, first 2 shown]
	v_add_f64 v[59:60], v[11:12], v[3:4]
	v_add_f64 v[5:6], v[41:42], v[5:6]
	v_add_f64 v[11:12], v[21:22], -v[11:12]
	v_add_f64 v[41:42], v[9:10], -v[41:42]
	;; [unrolled: 1-line block ×4, first 2 shown]
	v_add_f64 v[13:14], v[1:2], v[13:14]
	v_add_f64 v[15:16], v[7:8], v[15:16]
	v_add_f64 v[7:8], v[7:8], -v[39:40]
	v_mul_f64 v[37:38], v[47:48], s[0:1]
	v_mul_f64 v[61:62], v[45:46], s[0:1]
	;; [unrolled: 1-line block ×7, first 2 shown]
	v_add_f64 v[21:22], v[59:60], v[21:22]
	v_add_f64 v[5:6], v[5:6], v[9:10]
	;; [unrolled: 1-line block ×4, first 2 shown]
	v_mul_f64 v[55:56], v[7:8], s[6:7]
	v_fma_f64 v[37:38], v[41:42], s[8:9], -v[37:38]
	v_fma_f64 v[9:10], v[45:46], s[0:1], -v[17:18]
	v_fma_f64 v[17:18], v[11:12], s[14:15], v[17:18]
	v_fma_f64 v[45:46], v[41:42], s[14:15], v[43:44]
	v_fma_f64 v[43:44], v[47:48], s[0:1], -v[43:44]
	v_fma_f64 v[41:42], v[53:54], s[6:7], v[49:50]
	v_fma_f64 v[7:8], v[7:8], s[6:7], v[51:52]
	v_fma_f64 v[11:12], v[11:12], s[8:9], -v[61:62]
	v_fma_f64 v[47:48], v[19:20], s[20:21], -v[49:50]
	;; [unrolled: 1-line block ×4, first 2 shown]
	v_fma_f64 v[13:14], v[13:14], s[18:19], v[1:2]
	v_fma_f64 v[15:16], v[15:16], s[18:19], v[3:4]
	v_fma_f64 v[35:36], v[35:36], s[16:17], -v[55:56]
	v_fma_f64 v[37:38], v[5:6], s[24:25], v[37:38]
	v_fma_f64 v[51:52], v[21:22], s[24:25], v[17:18]
	;; [unrolled: 1-line block ×6, first 2 shown]
	v_add_f64 v[41:42], v[41:42], v[13:14]
	v_add_f64 v[43:44], v[7:8], v[15:16]
	;; [unrolled: 1-line block ×7, first 2 shown]
	v_add_f64 v[7:8], v[43:44], -v[51:52]
	v_add_f64 v[9:10], v[37:38], v[47:48]
	v_add_f64 v[11:12], v[49:50], -v[21:22]
	v_add_f64 v[13:14], v[19:20], -v[17:18]
	v_add_f64 v[15:16], v[45:46], v[35:36]
	v_add_f64 v[17:18], v[17:18], v[19:20]
	v_add_f64 v[19:20], v[35:36], -v[45:46]
	v_add_f64 v[35:36], v[47:48], -v[37:38]
	v_add_f64 v[37:38], v[21:22], v[49:50]
	v_add_f64 v[39:40], v[41:42], -v[39:40]
	v_add_f64 v[41:42], v[51:52], v[43:44]
	v_mov_b32_e32 v21, 4
	v_mad_u32_u24 v22, 0x2a0, v23, 0
	v_mul_u32_u24_e32 v23, 6, v28
	v_lshlrev_b32_sdwa v21, v21, v71 dst_sel:DWORD dst_unused:UNUSED_PAD src0_sel:DWORD src1_sel:BYTE_0
	v_add3_u32 v21, v22, v21, v34
	v_lshlrev_b32_e32 v22, 4, v23
	ds_write_b128 v21, v[1:4]
	ds_write_b128 v21, v[5:8] offset:96
	ds_write_b128 v21, v[9:12] offset:192
	;; [unrolled: 1-line block ×6, first 2 shown]
	s_waitcnt lgkmcnt(0)
	s_barrier
	buffer_gl0_inv
	s_clause 0x5
	global_load_dwordx4 v[1:4], v22, s[12:13] offset:576
	global_load_dwordx4 v[5:8], v22, s[12:13] offset:592
	;; [unrolled: 1-line block ×6, first 2 shown]
	ds_read_b128 v[38:41], v0
	ds_read_b128 v[42:45], v31 offset:1344
	ds_read_b128 v[46:49], v31 offset:4032
	;; [unrolled: 1-line block ×5, first 2 shown]
	ds_read_b128 v[62:65], v33
	s_waitcnt vmcnt(0) lgkmcnt(0)
	s_barrier
	buffer_gl0_inv
	v_mul_f64 v[21:22], v[40:41], v[3:4]
	v_mul_f64 v[3:4], v[38:39], v[3:4]
	;; [unrolled: 1-line block ×8, first 2 shown]
	v_fma_f64 v[21:22], v[38:39], v[1:2], -v[21:22]
	v_fma_f64 v[0:1], v[40:41], v[1:2], v[3:4]
	v_mul_f64 v[2:3], v[56:57], v[19:20]
	v_mul_f64 v[38:39], v[60:61], v[36:37]
	;; [unrolled: 1-line block ×4, first 2 shown]
	v_fma_f64 v[40:41], v[42:43], v[5:6], -v[66:67]
	v_fma_f64 v[4:5], v[44:45], v[5:6], v[7:8]
	v_fma_f64 v[6:7], v[46:47], v[9:10], -v[68:69]
	v_fma_f64 v[8:9], v[48:49], v[9:10], v[11:12]
	;; [unrolled: 2-line block ×3, first 2 shown]
	v_fma_f64 v[2:3], v[54:55], v[17:18], -v[2:3]
	v_fma_f64 v[14:15], v[58:59], v[34:35], -v[38:39]
	v_fma_f64 v[16:17], v[56:57], v[17:18], v[19:20]
	v_fma_f64 v[18:19], v[60:61], v[34:35], v[36:37]
	v_add_f64 v[34:35], v[21:22], v[6:7]
	v_add_f64 v[36:37], v[0:1], v[8:9]
	;; [unrolled: 1-line block ×4, first 2 shown]
	v_add_f64 v[10:11], v[40:41], -v[10:11]
	v_add_f64 v[4:5], v[4:5], -v[12:13]
	;; [unrolled: 1-line block ×5, first 2 shown]
	v_add_f64 v[2:3], v[2:3], v[14:15]
	v_add_f64 v[12:13], v[18:19], -v[16:17]
	v_add_f64 v[14:15], v[16:17], v[18:19]
	v_add_f64 v[0:1], v[38:39], v[34:35]
	;; [unrolled: 1-line block ×3, first 2 shown]
	v_add_f64 v[48:49], v[4:5], -v[8:9]
	v_add_f64 v[46:47], v[10:11], -v[6:7]
	;; [unrolled: 1-line block ×7, first 2 shown]
	v_add_f64 v[10:11], v[40:41], v[10:11]
	v_add_f64 v[4:5], v[12:13], v[4:5]
	;; [unrolled: 1-line block ×4, first 2 shown]
	v_add_f64 v[14:15], v[14:15], -v[42:43]
	v_add_f64 v[40:41], v[6:7], -v[40:41]
	v_add_f64 v[12:13], v[8:9], -v[12:13]
	v_mul_f64 v[54:55], v[46:47], s[0:1]
	v_mul_f64 v[56:57], v[48:49], s[0:1]
	v_add_f64 v[34:35], v[38:39], -v[34:35]
	v_add_f64 v[36:37], v[42:43], -v[36:37]
	v_mul_f64 v[18:19], v[18:19], s[4:5]
	v_mul_f64 v[22:23], v[22:23], s[22:23]
	;; [unrolled: 1-line block ×5, first 2 shown]
	v_add_f64 v[6:7], v[10:11], v[6:7]
	v_add_f64 v[4:5], v[4:5], v[8:9]
	;; [unrolled: 1-line block ×4, first 2 shown]
	v_mul_f64 v[42:43], v[14:15], s[6:7]
	s_mov_b32 s5, exec_lo
	v_fma_f64 v[8:9], v[46:47], s[0:1], -v[18:19]
	v_fma_f64 v[10:11], v[40:41], s[14:15], v[18:19]
	v_fma_f64 v[18:19], v[48:49], s[0:1], -v[20:21]
	v_fma_f64 v[20:21], v[12:13], s[14:15], v[20:21]
	v_fma_f64 v[46:47], v[52:53], s[6:7], v[22:23]
	;; [unrolled: 1-line block ×3, first 2 shown]
	v_fma_f64 v[40:41], v[40:41], s[8:9], -v[54:55]
	v_fma_f64 v[48:49], v[50:51], s[18:19], v[0:1]
	v_fma_f64 v[16:17], v[16:17], s[18:19], v[2:3]
	v_fma_f64 v[12:13], v[12:13], s[8:9], -v[56:57]
	v_fma_f64 v[22:23], v[34:35], s[20:21], -v[22:23]
	;; [unrolled: 1-line block ×5, first 2 shown]
	s_add_u32 s1, s12, 0x1200
	s_addc_u32 s4, s13, 0
	v_fma_f64 v[38:39], v[6:7], s[24:25], v[10:11]
	v_fma_f64 v[18:19], v[4:5], s[24:25], v[18:19]
	v_fma_f64 v[42:43], v[4:5], s[24:25], v[20:21]
	v_fma_f64 v[20:21], v[6:7], s[24:25], v[8:9]
	v_fma_f64 v[40:41], v[6:7], s[24:25], v[40:41]
	v_add_f64 v[46:47], v[46:47], v[48:49]
	v_add_f64 v[52:53], v[14:15], v[16:17]
	v_fma_f64 v[50:51], v[4:5], s[24:25], v[12:13]
	v_add_f64 v[22:23], v[22:23], v[48:49]
	v_add_f64 v[44:45], v[44:45], v[16:17]
	;; [unrolled: 1-line block ×5, first 2 shown]
	v_add_f64 v[6:7], v[52:53], -v[38:39]
	v_add_f64 v[8:9], v[50:51], v[22:23]
	v_add_f64 v[10:11], v[44:45], -v[40:41]
	v_add_f64 v[12:13], v[34:35], -v[18:19]
	v_add_f64 v[14:15], v[20:21], v[36:37]
	v_add_f64 v[16:17], v[18:19], v[34:35]
	v_add_f64 v[18:19], v[36:37], -v[20:21]
	v_add_f64 v[20:21], v[22:23], -v[50:51]
	v_add_f64 v[22:23], v[40:41], v[44:45]
	v_add_f64 v[34:35], v[46:47], -v[42:43]
	v_add_f64 v[36:37], v[38:39], v[52:53]
	ds_write_b128 v31, v[0:3]
	ds_write_b128 v31, v[4:7] offset:672
	ds_write_b128 v31, v[8:11] offset:1344
	;; [unrolled: 1-line block ×6, first 2 shown]
	s_waitcnt lgkmcnt(0)
	s_barrier
	buffer_gl0_inv
	ds_read_b128 v[0:3], v33
	v_sub_nc_u32_e32 v10, v32, v29
                                        ; implicit-def: $vgpr6_vgpr7
                                        ; implicit-def: $vgpr4_vgpr5
                                        ; implicit-def: $vgpr8_vgpr9
	v_cmpx_ne_u32_e32 0, v28
	s_xor_b32 s5, exec_lo, s5
	s_cbranch_execz .LBB0_16
; %bb.15:
	v_mov_b32_e32 v29, 0
	ds_read_b128 v[11:14], v10 offset:4704
	v_lshlrev_b64 v[4:5], 4, v[28:29]
	v_add_co_u32 v4, s0, s1, v4
	v_add_co_ci_u32_e64 v5, s0, s4, v5, s0
	global_load_dwordx4 v[6:9], v[4:5], off
	s_waitcnt lgkmcnt(0)
	v_add_f64 v[4:5], v[0:1], -v[11:12]
	v_add_f64 v[15:16], v[2:3], v[13:14]
	v_add_f64 v[2:3], v[2:3], -v[13:14]
	v_add_f64 v[0:1], v[0:1], v[11:12]
	v_mul_f64 v[4:5], v[4:5], 0.5
	v_mul_f64 v[13:14], v[15:16], 0.5
	;; [unrolled: 1-line block ×3, first 2 shown]
	s_waitcnt vmcnt(0)
	v_mul_f64 v[11:12], v[4:5], v[8:9]
	v_fma_f64 v[15:16], v[13:14], v[8:9], v[2:3]
	v_fma_f64 v[2:3], v[13:14], v[8:9], -v[2:3]
	v_fma_f64 v[8:9], v[0:1], 0.5, v[11:12]
	v_fma_f64 v[0:1], v[0:1], 0.5, -v[11:12]
	v_fma_f64 v[11:12], -v[6:7], v[4:5], v[15:16]
	v_fma_f64 v[2:3], -v[6:7], v[4:5], v[2:3]
	ds_write_b64 v33, v[11:12] offset:8
	ds_write_b64 v10, v[2:3] offset:4712
	v_fma_f64 v[4:5], v[13:14], v[6:7], v[8:9]
	v_mov_b32_e32 v8, v28
	v_fma_f64 v[6:7], -v[13:14], v[6:7], v[0:1]
	v_mov_b32_e32 v9, v29
                                        ; implicit-def: $vgpr0_vgpr1
.LBB0_16:
	s_andn2_saveexec_b32 s0, s5
	s_cbranch_execz .LBB0_18
; %bb.17:
	s_mov_b32 s6, 0
	s_waitcnt lgkmcnt(0)
	v_add_f64 v[6:7], v[0:1], -v[2:3]
	s_mov_b32 s7, s6
	v_mov_b32_e32 v4, s6
	v_mov_b32_e32 v5, s7
	;; [unrolled: 1-line block ×4, first 2 shown]
	ds_write_b64 v33, v[4:5] offset:8
	ds_write_b64 v10, v[4:5] offset:4712
	ds_read_b64 v[11:12], v32 offset:2360
	v_add_f64 v[4:5], v[0:1], v[2:3]
	s_waitcnt lgkmcnt(0)
	v_xor_b32_e32 v12, 0x80000000, v12
	ds_write_b64 v32, v[11:12] offset:2360
.LBB0_18:
	s_or_b32 exec_lo, exec_lo, s0
	v_mov_b32_e32 v31, 0
	v_lshl_add_u32 v23, v30, 4, v32
	s_waitcnt lgkmcnt(0)
	v_lshlrev_b64 v[0:1], 4, v[30:31]
	v_add_co_u32 v0, s0, s1, v0
	v_add_co_ci_u32_e64 v1, s0, s4, v1, s0
	global_load_dwordx4 v[11:14], v[0:1], off
	v_lshlrev_b64 v[0:1], 4, v[8:9]
	v_add_co_u32 v0, s0, s1, v0
	v_add_co_ci_u32_e64 v1, s0, s4, v1, s0
	s_mov_b32 s1, exec_lo
	global_load_dwordx4 v[15:18], v[0:1], off offset:1344
	ds_write_b64 v33, v[4:5]
	ds_write_b64 v10, v[6:7] offset:4704
	ds_read_b128 v[2:5], v10 offset:4032
	ds_read_b128 v[6:9], v23
	s_waitcnt lgkmcnt(0)
	v_add_f64 v[19:20], v[6:7], -v[2:3]
	v_add_f64 v[21:22], v[8:9], v[4:5]
	v_add_f64 v[4:5], v[8:9], -v[4:5]
	v_add_f64 v[2:3], v[6:7], v[2:3]
	v_mul_f64 v[8:9], v[19:20], 0.5
	v_mul_f64 v[19:20], v[21:22], 0.5
	;; [unrolled: 1-line block ×3, first 2 shown]
	s_waitcnt vmcnt(1)
	v_mul_f64 v[6:7], v[8:9], v[13:14]
	v_fma_f64 v[21:22], v[19:20], v[13:14], v[4:5]
	v_fma_f64 v[13:14], v[19:20], v[13:14], -v[4:5]
	v_fma_f64 v[29:30], v[2:3], 0.5, v[6:7]
	v_fma_f64 v[6:7], v[2:3], 0.5, -v[6:7]
	v_fma_f64 v[4:5], -v[11:12], v[8:9], v[21:22]
	v_fma_f64 v[8:9], -v[11:12], v[8:9], v[13:14]
	v_fma_f64 v[2:3], v[19:20], v[11:12], v[29:30]
	v_fma_f64 v[6:7], -v[19:20], v[11:12], v[6:7]
	ds_write_b128 v23, v[2:5]
	ds_write_b128 v10, v[6:9] offset:4032
	ds_read_b128 v[2:5], v33 offset:1344
	ds_read_b128 v[6:9], v10 offset:3360
	s_waitcnt lgkmcnt(0)
	v_add_f64 v[11:12], v[2:3], -v[6:7]
	v_add_f64 v[13:14], v[4:5], v[8:9]
	v_add_f64 v[4:5], v[4:5], -v[8:9]
	v_add_f64 v[2:3], v[2:3], v[6:7]
	v_mul_f64 v[8:9], v[11:12], 0.5
	v_mul_f64 v[11:12], v[13:14], 0.5
	;; [unrolled: 1-line block ×3, first 2 shown]
	s_waitcnt vmcnt(0)
	v_mul_f64 v[6:7], v[8:9], v[17:18]
	v_fma_f64 v[13:14], v[11:12], v[17:18], v[4:5]
	v_fma_f64 v[17:18], v[11:12], v[17:18], -v[4:5]
	v_fma_f64 v[19:20], v[2:3], 0.5, v[6:7]
	v_fma_f64 v[6:7], v[2:3], 0.5, -v[6:7]
	v_fma_f64 v[4:5], -v[15:16], v[8:9], v[13:14]
	v_fma_f64 v[8:9], -v[15:16], v[8:9], v[17:18]
	v_fma_f64 v[2:3], v[11:12], v[15:16], v[19:20]
	v_fma_f64 v[6:7], -v[11:12], v[15:16], v[6:7]
	ds_write_b128 v33, v[2:5] offset:1344
	ds_write_b128 v10, v[6:9] offset:3360
	v_cmpx_gt_u32_e32 21, v28
	s_cbranch_execz .LBB0_20
; %bb.19:
	global_load_dwordx4 v[0:3], v[0:1], off offset:2016
	ds_read_b128 v[4:7], v33 offset:2016
	ds_read_b128 v[11:14], v10 offset:2688
	s_waitcnt lgkmcnt(0)
	v_add_f64 v[8:9], v[4:5], -v[11:12]
	v_add_f64 v[15:16], v[6:7], v[13:14]
	v_add_f64 v[6:7], v[6:7], -v[13:14]
	v_add_f64 v[4:5], v[4:5], v[11:12]
	v_mul_f64 v[8:9], v[8:9], 0.5
	v_mul_f64 v[13:14], v[15:16], 0.5
	;; [unrolled: 1-line block ×3, first 2 shown]
	s_waitcnt vmcnt(0)
	v_mul_f64 v[11:12], v[8:9], v[2:3]
	v_fma_f64 v[15:16], v[13:14], v[2:3], v[6:7]
	v_fma_f64 v[2:3], v[13:14], v[2:3], -v[6:7]
	v_fma_f64 v[6:7], v[4:5], 0.5, v[11:12]
	v_fma_f64 v[11:12], v[4:5], 0.5, -v[11:12]
	v_fma_f64 v[4:5], -v[0:1], v[8:9], v[15:16]
	v_fma_f64 v[8:9], -v[0:1], v[8:9], v[2:3]
	v_fma_f64 v[2:3], v[13:14], v[0:1], v[6:7]
	v_fma_f64 v[6:7], -v[13:14], v[0:1], v[11:12]
	ds_write_b128 v33, v[2:5] offset:2016
	ds_write_b128 v10, v[6:9] offset:2688
.LBB0_20:
	s_or_b32 exec_lo, exec_lo, s1
	s_waitcnt lgkmcnt(0)
	s_barrier
	buffer_gl0_inv
	s_and_saveexec_b32 s0, vcc_lo
	s_cbranch_execz .LBB0_23
; %bb.21:
	v_mul_lo_u32 v3, s3, v26
	v_mul_lo_u32 v4, s2, v27
	v_mad_u64_u32 v[1:2], null, s2, v26, 0
	v_lshl_add_u32 v0, v28, 4, v32
	v_mov_b32_e32 v29, 0
	v_lshlrev_b64 v[15:16], 4, v[24:25]
	v_add_nc_u32_e32 v17, 42, v28
	v_add_nc_u32_e32 v19, 0x54, v28
	;; [unrolled: 1-line block ×3, first 2 shown]
	v_add3_u32 v2, v2, v4, v3
	ds_read_b128 v[3:6], v0
	ds_read_b128 v[7:10], v0 offset:672
	v_mov_b32_e32 v18, v29
	v_lshlrev_b64 v[21:22], 4, v[28:29]
	ds_read_b128 v[11:14], v0 offset:1344
	v_lshlrev_b64 v[1:2], 4, v[1:2]
	v_mov_b32_e32 v20, v29
	v_mov_b32_e32 v26, v29
	v_lshlrev_b64 v[19:20], 4, v[19:20]
	v_add_co_u32 v1, vcc_lo, s10, v1
	v_add_co_ci_u32_e32 v2, vcc_lo, s11, v2, vcc_lo
	v_lshlrev_b64 v[25:26], 4, v[25:26]
	v_add_co_u32 v1, vcc_lo, v1, v15
	v_add_co_ci_u32_e32 v2, vcc_lo, v2, v16, vcc_lo
	;; [unrolled: 3-line block ×3, first 2 shown]
	v_add_nc_u32_e32 v21, 0x7e, v28
	v_add_co_u32 v15, vcc_lo, v1, v15
	v_mov_b32_e32 v22, v29
	v_add_co_ci_u32_e32 v16, vcc_lo, v2, v16, vcc_lo
	v_add_co_u32 v19, vcc_lo, v1, v19
	s_waitcnt lgkmcnt(2)
	global_store_dwordx4 v[17:18], v[3:6], off
	s_waitcnt lgkmcnt(1)
	global_store_dwordx4 v[15:16], v[7:10], off
	v_lshlrev_b64 v[7:8], 4, v[21:22]
	v_add_co_ci_u32_e32 v20, vcc_lo, v2, v20, vcc_lo
	v_add_nc_u32_e32 v9, 0xa8, v28
	v_mov_b32_e32 v10, v29
	v_add_nc_u32_e32 v15, 0xd2, v28
	s_waitcnt lgkmcnt(0)
	global_store_dwordx4 v[19:20], v[11:14], off
	v_mov_b32_e32 v16, v29
	v_add_co_u32 v19, vcc_lo, v1, v7
	ds_read_b128 v[3:6], v0 offset:2016
	v_add_co_ci_u32_e32 v20, vcc_lo, v2, v8, vcc_lo
	v_lshlrev_b64 v[21:22], 4, v[9:10]
	ds_read_b128 v[7:10], v0 offset:2688
	ds_read_b128 v[11:14], v0 offset:3360
	v_lshlrev_b64 v[23:24], 4, v[15:16]
	ds_read_b128 v[15:18], v0 offset:4032
	v_add_co_u32 v21, vcc_lo, v1, v21
	v_add_co_ci_u32_e32 v22, vcc_lo, v2, v22, vcc_lo
	v_add_co_u32 v23, vcc_lo, v1, v23
	v_add_co_ci_u32_e32 v24, vcc_lo, v2, v24, vcc_lo
	;; [unrolled: 2-line block ×3, first 2 shown]
	v_cmp_eq_u32_e32 vcc_lo, 41, v28
	s_waitcnt lgkmcnt(3)
	global_store_dwordx4 v[19:20], v[3:6], off
	s_waitcnt lgkmcnt(2)
	global_store_dwordx4 v[21:22], v[7:10], off
	;; [unrolled: 2-line block ×4, first 2 shown]
	s_and_b32 exec_lo, exec_lo, vcc_lo
	s_cbranch_execz .LBB0_23
; %bb.22:
	ds_read_b128 v[3:6], v0 offset:4048
	v_add_co_u32 v0, vcc_lo, 0x1000, v1
	v_add_co_ci_u32_e32 v1, vcc_lo, 0, v2, vcc_lo
	s_waitcnt lgkmcnt(0)
	global_store_dwordx4 v[0:1], v[3:6], off offset:608
.LBB0_23:
	s_endpgm
	.section	.rodata,"a",@progbits
	.p2align	6, 0x0
	.amdhsa_kernel fft_rtc_fwd_len294_factors_6_7_7_wgs_126_tpt_42_dp_op_CI_CI_unitstride_sbrr_R2C_dirReg
		.amdhsa_group_segment_fixed_size 0
		.amdhsa_private_segment_fixed_size 0
		.amdhsa_kernarg_size 104
		.amdhsa_user_sgpr_count 6
		.amdhsa_user_sgpr_private_segment_buffer 1
		.amdhsa_user_sgpr_dispatch_ptr 0
		.amdhsa_user_sgpr_queue_ptr 0
		.amdhsa_user_sgpr_kernarg_segment_ptr 1
		.amdhsa_user_sgpr_dispatch_id 0
		.amdhsa_user_sgpr_flat_scratch_init 0
		.amdhsa_user_sgpr_private_segment_size 0
		.amdhsa_wavefront_size32 1
		.amdhsa_uses_dynamic_stack 0
		.amdhsa_system_sgpr_private_segment_wavefront_offset 0
		.amdhsa_system_sgpr_workgroup_id_x 1
		.amdhsa_system_sgpr_workgroup_id_y 0
		.amdhsa_system_sgpr_workgroup_id_z 0
		.amdhsa_system_sgpr_workgroup_info 0
		.amdhsa_system_vgpr_workitem_id 0
		.amdhsa_next_free_vgpr 72
		.amdhsa_next_free_sgpr 27
		.amdhsa_reserve_vcc 1
		.amdhsa_reserve_flat_scratch 0
		.amdhsa_float_round_mode_32 0
		.amdhsa_float_round_mode_16_64 0
		.amdhsa_float_denorm_mode_32 3
		.amdhsa_float_denorm_mode_16_64 3
		.amdhsa_dx10_clamp 1
		.amdhsa_ieee_mode 1
		.amdhsa_fp16_overflow 0
		.amdhsa_workgroup_processor_mode 1
		.amdhsa_memory_ordered 1
		.amdhsa_forward_progress 0
		.amdhsa_shared_vgpr_count 0
		.amdhsa_exception_fp_ieee_invalid_op 0
		.amdhsa_exception_fp_denorm_src 0
		.amdhsa_exception_fp_ieee_div_zero 0
		.amdhsa_exception_fp_ieee_overflow 0
		.amdhsa_exception_fp_ieee_underflow 0
		.amdhsa_exception_fp_ieee_inexact 0
		.amdhsa_exception_int_div_zero 0
	.end_amdhsa_kernel
	.text
.Lfunc_end0:
	.size	fft_rtc_fwd_len294_factors_6_7_7_wgs_126_tpt_42_dp_op_CI_CI_unitstride_sbrr_R2C_dirReg, .Lfunc_end0-fft_rtc_fwd_len294_factors_6_7_7_wgs_126_tpt_42_dp_op_CI_CI_unitstride_sbrr_R2C_dirReg
                                        ; -- End function
	.section	.AMDGPU.csdata,"",@progbits
; Kernel info:
; codeLenInByte = 6476
; NumSgprs: 29
; NumVgprs: 72
; ScratchSize: 0
; MemoryBound: 0
; FloatMode: 240
; IeeeMode: 1
; LDSByteSize: 0 bytes/workgroup (compile time only)
; SGPRBlocks: 3
; VGPRBlocks: 8
; NumSGPRsForWavesPerEU: 29
; NumVGPRsForWavesPerEU: 72
; Occupancy: 12
; WaveLimiterHint : 1
; COMPUTE_PGM_RSRC2:SCRATCH_EN: 0
; COMPUTE_PGM_RSRC2:USER_SGPR: 6
; COMPUTE_PGM_RSRC2:TRAP_HANDLER: 0
; COMPUTE_PGM_RSRC2:TGID_X_EN: 1
; COMPUTE_PGM_RSRC2:TGID_Y_EN: 0
; COMPUTE_PGM_RSRC2:TGID_Z_EN: 0
; COMPUTE_PGM_RSRC2:TIDIG_COMP_CNT: 0
	.text
	.p2alignl 6, 3214868480
	.fill 48, 4, 3214868480
	.type	__hip_cuid_ede907b82f5c8d5c,@object ; @__hip_cuid_ede907b82f5c8d5c
	.section	.bss,"aw",@nobits
	.globl	__hip_cuid_ede907b82f5c8d5c
__hip_cuid_ede907b82f5c8d5c:
	.byte	0                               ; 0x0
	.size	__hip_cuid_ede907b82f5c8d5c, 1

	.ident	"AMD clang version 19.0.0git (https://github.com/RadeonOpenCompute/llvm-project roc-6.4.0 25133 c7fe45cf4b819c5991fe208aaa96edf142730f1d)"
	.section	".note.GNU-stack","",@progbits
	.addrsig
	.addrsig_sym __hip_cuid_ede907b82f5c8d5c
	.amdgpu_metadata
---
amdhsa.kernels:
  - .args:
      - .actual_access:  read_only
        .address_space:  global
        .offset:         0
        .size:           8
        .value_kind:     global_buffer
      - .offset:         8
        .size:           8
        .value_kind:     by_value
      - .actual_access:  read_only
        .address_space:  global
        .offset:         16
        .size:           8
        .value_kind:     global_buffer
      - .actual_access:  read_only
        .address_space:  global
        .offset:         24
        .size:           8
        .value_kind:     global_buffer
      - .actual_access:  read_only
        .address_space:  global
        .offset:         32
        .size:           8
        .value_kind:     global_buffer
      - .offset:         40
        .size:           8
        .value_kind:     by_value
      - .actual_access:  read_only
        .address_space:  global
        .offset:         48
        .size:           8
        .value_kind:     global_buffer
      - .actual_access:  read_only
        .address_space:  global
        .offset:         56
        .size:           8
        .value_kind:     global_buffer
      - .offset:         64
        .size:           4
        .value_kind:     by_value
      - .actual_access:  read_only
        .address_space:  global
        .offset:         72
        .size:           8
        .value_kind:     global_buffer
      - .actual_access:  read_only
        .address_space:  global
        .offset:         80
        .size:           8
        .value_kind:     global_buffer
      - .actual_access:  read_only
        .address_space:  global
        .offset:         88
        .size:           8
        .value_kind:     global_buffer
      - .actual_access:  write_only
        .address_space:  global
        .offset:         96
        .size:           8
        .value_kind:     global_buffer
    .group_segment_fixed_size: 0
    .kernarg_segment_align: 8
    .kernarg_segment_size: 104
    .language:       OpenCL C
    .language_version:
      - 2
      - 0
    .max_flat_workgroup_size: 126
    .name:           fft_rtc_fwd_len294_factors_6_7_7_wgs_126_tpt_42_dp_op_CI_CI_unitstride_sbrr_R2C_dirReg
    .private_segment_fixed_size: 0
    .sgpr_count:     29
    .sgpr_spill_count: 0
    .symbol:         fft_rtc_fwd_len294_factors_6_7_7_wgs_126_tpt_42_dp_op_CI_CI_unitstride_sbrr_R2C_dirReg.kd
    .uniform_work_group_size: 1
    .uses_dynamic_stack: false
    .vgpr_count:     72
    .vgpr_spill_count: 0
    .wavefront_size: 32
    .workgroup_processor_mode: 1
amdhsa.target:   amdgcn-amd-amdhsa--gfx1030
amdhsa.version:
  - 1
  - 2
...

	.end_amdgpu_metadata
